;; amdgpu-corpus repo=ROCm/rocFFT kind=compiled arch=gfx1201 opt=O3
	.text
	.amdgcn_target "amdgcn-amd-amdhsa--gfx1201"
	.amdhsa_code_object_version 6
	.protected	fft_rtc_fwd_len1125_factors_5_5_3_3_5_wgs_225_tpt_225_halfLds_dp_op_CI_CI_unitstride_sbrr_dirReg ; -- Begin function fft_rtc_fwd_len1125_factors_5_5_3_3_5_wgs_225_tpt_225_halfLds_dp_op_CI_CI_unitstride_sbrr_dirReg
	.globl	fft_rtc_fwd_len1125_factors_5_5_3_3_5_wgs_225_tpt_225_halfLds_dp_op_CI_CI_unitstride_sbrr_dirReg
	.p2align	8
	.type	fft_rtc_fwd_len1125_factors_5_5_3_3_5_wgs_225_tpt_225_halfLds_dp_op_CI_CI_unitstride_sbrr_dirReg,@function
fft_rtc_fwd_len1125_factors_5_5_3_3_5_wgs_225_tpt_225_halfLds_dp_op_CI_CI_unitstride_sbrr_dirReg: ; @fft_rtc_fwd_len1125_factors_5_5_3_3_5_wgs_225_tpt_225_halfLds_dp_op_CI_CI_unitstride_sbrr_dirReg
; %bb.0:
	s_clause 0x2
	s_load_b128 s[8:11], s[0:1], 0x0
	s_load_b128 s[4:7], s[0:1], 0x58
	;; [unrolled: 1-line block ×3, first 2 shown]
	v_mul_u32_u24_e32 v1, 0x124, v0
	v_mov_b32_e32 v4, 0
	v_mov_b32_e32 v5, 0
	s_delay_alu instid0(VALU_DEP_3) | instskip(NEXT) | instid1(VALU_DEP_1)
	v_lshrrev_b32_e32 v2, 16, v1
	v_dual_mov_b32 v1, 0 :: v_dual_add_nc_u32 v6, ttmp9, v2
	s_delay_alu instid0(VALU_DEP_1) | instskip(SKIP_2) | instid1(VALU_DEP_1)
	v_mov_b32_e32 v7, v1
	s_wait_kmcnt 0x0
	v_cmp_lt_u64_e64 s2, s[10:11], 2
	s_and_b32 vcc_lo, exec_lo, s2
	s_cbranch_vccnz .LBB0_8
; %bb.1:
	s_load_b64 s[2:3], s[0:1], 0x10
	v_mov_b32_e32 v4, 0
	v_mov_b32_e32 v5, 0
	s_add_nc_u64 s[16:17], s[14:15], 8
	s_add_nc_u64 s[18:19], s[12:13], 8
	s_mov_b64 s[20:21], 1
	s_delay_alu instid0(VALU_DEP_1)
	v_dual_mov_b32 v21, v5 :: v_dual_mov_b32 v20, v4
	s_wait_kmcnt 0x0
	s_add_nc_u64 s[22:23], s[2:3], 8
	s_mov_b32 s3, 0
.LBB0_2:                                ; =>This Inner Loop Header: Depth=1
	s_load_b64 s[24:25], s[22:23], 0x0
                                        ; implicit-def: $vgpr22_vgpr23
	s_mov_b32 s2, exec_lo
	s_wait_kmcnt 0x0
	v_or_b32_e32 v2, s25, v7
	s_delay_alu instid0(VALU_DEP_1)
	v_cmpx_ne_u64_e32 0, v[1:2]
	s_wait_alu 0xfffe
	s_xor_b32 s26, exec_lo, s2
	s_cbranch_execz .LBB0_4
; %bb.3:                                ;   in Loop: Header=BB0_2 Depth=1
	s_cvt_f32_u32 s2, s24
	s_cvt_f32_u32 s27, s25
	s_sub_nc_u64 s[30:31], 0, s[24:25]
	s_wait_alu 0xfffe
	s_delay_alu instid0(SALU_CYCLE_1) | instskip(SKIP_1) | instid1(SALU_CYCLE_2)
	s_fmamk_f32 s2, s27, 0x4f800000, s2
	s_wait_alu 0xfffe
	v_s_rcp_f32 s2, s2
	s_delay_alu instid0(TRANS32_DEP_1) | instskip(SKIP_1) | instid1(SALU_CYCLE_2)
	s_mul_f32 s2, s2, 0x5f7ffffc
	s_wait_alu 0xfffe
	s_mul_f32 s27, s2, 0x2f800000
	s_wait_alu 0xfffe
	s_delay_alu instid0(SALU_CYCLE_2) | instskip(SKIP_1) | instid1(SALU_CYCLE_2)
	s_trunc_f32 s27, s27
	s_wait_alu 0xfffe
	s_fmamk_f32 s2, s27, 0xcf800000, s2
	s_cvt_u32_f32 s29, s27
	s_wait_alu 0xfffe
	s_delay_alu instid0(SALU_CYCLE_1) | instskip(SKIP_1) | instid1(SALU_CYCLE_2)
	s_cvt_u32_f32 s28, s2
	s_wait_alu 0xfffe
	s_mul_u64 s[34:35], s[30:31], s[28:29]
	s_wait_alu 0xfffe
	s_mul_hi_u32 s37, s28, s35
	s_mul_i32 s36, s28, s35
	s_mul_hi_u32 s2, s28, s34
	s_mul_i32 s33, s29, s34
	s_wait_alu 0xfffe
	s_add_nc_u64 s[36:37], s[2:3], s[36:37]
	s_mul_hi_u32 s27, s29, s34
	s_mul_hi_u32 s38, s29, s35
	s_add_co_u32 s2, s36, s33
	s_wait_alu 0xfffe
	s_add_co_ci_u32 s2, s37, s27
	s_mul_i32 s34, s29, s35
	s_add_co_ci_u32 s35, s38, 0
	s_wait_alu 0xfffe
	s_add_nc_u64 s[34:35], s[2:3], s[34:35]
	s_wait_alu 0xfffe
	v_add_co_u32 v2, s2, s28, s34
	s_delay_alu instid0(VALU_DEP_1) | instskip(SKIP_1) | instid1(VALU_DEP_1)
	s_cmp_lg_u32 s2, 0
	s_add_co_ci_u32 s29, s29, s35
	v_readfirstlane_b32 s28, v2
	s_wait_alu 0xfffe
	s_delay_alu instid0(VALU_DEP_1)
	s_mul_u64 s[30:31], s[30:31], s[28:29]
	s_wait_alu 0xfffe
	s_mul_hi_u32 s35, s28, s31
	s_mul_i32 s34, s28, s31
	s_mul_hi_u32 s2, s28, s30
	s_mul_i32 s33, s29, s30
	s_wait_alu 0xfffe
	s_add_nc_u64 s[34:35], s[2:3], s[34:35]
	s_mul_hi_u32 s27, s29, s30
	s_mul_hi_u32 s28, s29, s31
	s_wait_alu 0xfffe
	s_add_co_u32 s2, s34, s33
	s_add_co_ci_u32 s2, s35, s27
	s_mul_i32 s30, s29, s31
	s_add_co_ci_u32 s31, s28, 0
	s_wait_alu 0xfffe
	s_add_nc_u64 s[30:31], s[2:3], s[30:31]
	s_wait_alu 0xfffe
	v_add_co_u32 v8, s2, v2, s30
	s_delay_alu instid0(VALU_DEP_1) | instskip(SKIP_1) | instid1(VALU_DEP_1)
	s_cmp_lg_u32 s2, 0
	s_add_co_ci_u32 s2, s29, s31
	v_mul_hi_u32 v12, v6, v8
	s_wait_alu 0xfffe
	v_mad_co_u64_u32 v[2:3], null, v6, s2, 0
	v_mad_co_u64_u32 v[8:9], null, v7, v8, 0
	;; [unrolled: 1-line block ×3, first 2 shown]
	s_delay_alu instid0(VALU_DEP_3) | instskip(SKIP_1) | instid1(VALU_DEP_4)
	v_add_co_u32 v2, vcc_lo, v12, v2
	s_wait_alu 0xfffd
	v_add_co_ci_u32_e32 v3, vcc_lo, 0, v3, vcc_lo
	s_delay_alu instid0(VALU_DEP_2) | instskip(SKIP_1) | instid1(VALU_DEP_2)
	v_add_co_u32 v2, vcc_lo, v2, v8
	s_wait_alu 0xfffd
	v_add_co_ci_u32_e32 v2, vcc_lo, v3, v9, vcc_lo
	s_wait_alu 0xfffd
	v_add_co_ci_u32_e32 v3, vcc_lo, 0, v11, vcc_lo
	s_delay_alu instid0(VALU_DEP_2) | instskip(SKIP_1) | instid1(VALU_DEP_2)
	v_add_co_u32 v8, vcc_lo, v2, v10
	s_wait_alu 0xfffd
	v_add_co_ci_u32_e32 v9, vcc_lo, 0, v3, vcc_lo
	s_delay_alu instid0(VALU_DEP_2) | instskip(SKIP_1) | instid1(VALU_DEP_3)
	v_mul_lo_u32 v10, s25, v8
	v_mad_co_u64_u32 v[2:3], null, s24, v8, 0
	v_mul_lo_u32 v11, s24, v9
	s_delay_alu instid0(VALU_DEP_2) | instskip(NEXT) | instid1(VALU_DEP_2)
	v_sub_co_u32 v2, vcc_lo, v6, v2
	v_add3_u32 v3, v3, v11, v10
	s_delay_alu instid0(VALU_DEP_1) | instskip(SKIP_1) | instid1(VALU_DEP_1)
	v_sub_nc_u32_e32 v10, v7, v3
	s_wait_alu 0xfffd
	v_subrev_co_ci_u32_e64 v10, s2, s25, v10, vcc_lo
	v_add_co_u32 v11, s2, v8, 2
	s_wait_alu 0xf1ff
	v_add_co_ci_u32_e64 v12, s2, 0, v9, s2
	v_sub_co_u32 v13, s2, v2, s24
	v_sub_co_ci_u32_e32 v3, vcc_lo, v7, v3, vcc_lo
	s_wait_alu 0xf1ff
	v_subrev_co_ci_u32_e64 v10, s2, 0, v10, s2
	s_delay_alu instid0(VALU_DEP_3) | instskip(NEXT) | instid1(VALU_DEP_3)
	v_cmp_le_u32_e32 vcc_lo, s24, v13
	v_cmp_eq_u32_e64 s2, s25, v3
	s_wait_alu 0xfffd
	v_cndmask_b32_e64 v13, 0, -1, vcc_lo
	v_cmp_le_u32_e32 vcc_lo, s25, v10
	s_wait_alu 0xfffd
	v_cndmask_b32_e64 v14, 0, -1, vcc_lo
	v_cmp_le_u32_e32 vcc_lo, s24, v2
	;; [unrolled: 3-line block ×3, first 2 shown]
	s_wait_alu 0xfffd
	v_cndmask_b32_e64 v15, 0, -1, vcc_lo
	v_cmp_eq_u32_e32 vcc_lo, s25, v10
	s_wait_alu 0xf1ff
	s_delay_alu instid0(VALU_DEP_2)
	v_cndmask_b32_e64 v2, v15, v2, s2
	s_wait_alu 0xfffd
	v_cndmask_b32_e32 v10, v14, v13, vcc_lo
	v_add_co_u32 v13, vcc_lo, v8, 1
	s_wait_alu 0xfffd
	v_add_co_ci_u32_e32 v14, vcc_lo, 0, v9, vcc_lo
	s_delay_alu instid0(VALU_DEP_3) | instskip(SKIP_1) | instid1(VALU_DEP_2)
	v_cmp_ne_u32_e32 vcc_lo, 0, v10
	s_wait_alu 0xfffd
	v_dual_cndmask_b32 v3, v14, v12 :: v_dual_cndmask_b32 v10, v13, v11
	v_cmp_ne_u32_e32 vcc_lo, 0, v2
	s_wait_alu 0xfffd
	s_delay_alu instid0(VALU_DEP_2)
	v_dual_cndmask_b32 v23, v9, v3 :: v_dual_cndmask_b32 v22, v8, v10
.LBB0_4:                                ;   in Loop: Header=BB0_2 Depth=1
	s_wait_alu 0xfffe
	s_and_not1_saveexec_b32 s2, s26
	s_cbranch_execz .LBB0_6
; %bb.5:                                ;   in Loop: Header=BB0_2 Depth=1
	v_cvt_f32_u32_e32 v2, s24
	s_sub_co_i32 s26, 0, s24
	v_mov_b32_e32 v23, v1
	s_delay_alu instid0(VALU_DEP_2) | instskip(NEXT) | instid1(TRANS32_DEP_1)
	v_rcp_iflag_f32_e32 v2, v2
	v_mul_f32_e32 v2, 0x4f7ffffe, v2
	s_delay_alu instid0(VALU_DEP_1) | instskip(SKIP_1) | instid1(VALU_DEP_1)
	v_cvt_u32_f32_e32 v2, v2
	s_wait_alu 0xfffe
	v_mul_lo_u32 v3, s26, v2
	s_delay_alu instid0(VALU_DEP_1) | instskip(NEXT) | instid1(VALU_DEP_1)
	v_mul_hi_u32 v3, v2, v3
	v_add_nc_u32_e32 v2, v2, v3
	s_delay_alu instid0(VALU_DEP_1) | instskip(NEXT) | instid1(VALU_DEP_1)
	v_mul_hi_u32 v2, v6, v2
	v_mul_lo_u32 v3, v2, s24
	v_add_nc_u32_e32 v8, 1, v2
	s_delay_alu instid0(VALU_DEP_2) | instskip(NEXT) | instid1(VALU_DEP_1)
	v_sub_nc_u32_e32 v3, v6, v3
	v_subrev_nc_u32_e32 v9, s24, v3
	v_cmp_le_u32_e32 vcc_lo, s24, v3
	s_wait_alu 0xfffd
	s_delay_alu instid0(VALU_DEP_2) | instskip(NEXT) | instid1(VALU_DEP_1)
	v_dual_cndmask_b32 v3, v3, v9 :: v_dual_cndmask_b32 v2, v2, v8
	v_cmp_le_u32_e32 vcc_lo, s24, v3
	s_delay_alu instid0(VALU_DEP_2) | instskip(SKIP_1) | instid1(VALU_DEP_1)
	v_add_nc_u32_e32 v8, 1, v2
	s_wait_alu 0xfffd
	v_cndmask_b32_e32 v22, v2, v8, vcc_lo
.LBB0_6:                                ;   in Loop: Header=BB0_2 Depth=1
	s_wait_alu 0xfffe
	s_or_b32 exec_lo, exec_lo, s2
	v_mul_lo_u32 v8, v23, s24
	s_delay_alu instid0(VALU_DEP_2)
	v_mul_lo_u32 v9, v22, s25
	s_load_b64 s[26:27], s[18:19], 0x0
	v_mad_co_u64_u32 v[2:3], null, v22, s24, 0
	s_load_b64 s[24:25], s[16:17], 0x0
	s_add_nc_u64 s[20:21], s[20:21], 1
	s_add_nc_u64 s[16:17], s[16:17], 8
	s_wait_alu 0xfffe
	v_cmp_ge_u64_e64 s2, s[20:21], s[10:11]
	s_add_nc_u64 s[18:19], s[18:19], 8
	s_add_nc_u64 s[22:23], s[22:23], 8
	v_add3_u32 v3, v3, v9, v8
	v_sub_co_u32 v2, vcc_lo, v6, v2
	s_wait_alu 0xfffd
	s_delay_alu instid0(VALU_DEP_2) | instskip(SKIP_2) | instid1(VALU_DEP_1)
	v_sub_co_ci_u32_e32 v3, vcc_lo, v7, v3, vcc_lo
	s_and_b32 vcc_lo, exec_lo, s2
	s_wait_kmcnt 0x0
	v_mul_lo_u32 v6, s26, v3
	v_mul_lo_u32 v7, s27, v2
	v_mad_co_u64_u32 v[4:5], null, s26, v2, v[4:5]
	v_mul_lo_u32 v3, s24, v3
	v_mul_lo_u32 v8, s25, v2
	v_mad_co_u64_u32 v[20:21], null, s24, v2, v[20:21]
	s_delay_alu instid0(VALU_DEP_4) | instskip(NEXT) | instid1(VALU_DEP_2)
	v_add3_u32 v5, v7, v5, v6
	v_add3_u32 v21, v8, v21, v3
	s_wait_alu 0xfffe
	s_cbranch_vccnz .LBB0_9
; %bb.7:                                ;   in Loop: Header=BB0_2 Depth=1
	v_dual_mov_b32 v6, v22 :: v_dual_mov_b32 v7, v23
	s_branch .LBB0_2
.LBB0_8:
	v_dual_mov_b32 v21, v5 :: v_dual_mov_b32 v20, v4
	v_dual_mov_b32 v23, v7 :: v_dual_mov_b32 v22, v6
.LBB0_9:
	s_load_b64 s[0:1], s[0:1], 0x28
	v_mul_hi_u32 v1, 0x1234568, v0
	s_lshl_b64 s[10:11], s[10:11], 3
                                        ; implicit-def: $sgpr2_sgpr3
                                        ; implicit-def: $vgpr26
	s_wait_kmcnt 0x0
	v_cmp_gt_u64_e32 vcc_lo, s[0:1], v[22:23]
	v_cmp_le_u64_e64 s0, s[0:1], v[22:23]
	s_delay_alu instid0(VALU_DEP_1)
	s_and_saveexec_b32 s1, s0
	s_wait_alu 0xfffe
	s_xor_b32 s0, exec_lo, s1
; %bb.10:
	v_mul_u32_u24_e32 v1, 0xe1, v1
	s_mov_b64 s[2:3], 0
                                        ; implicit-def: $vgpr4_vgpr5
	s_delay_alu instid0(VALU_DEP_1)
	v_sub_nc_u32_e32 v26, v0, v1
                                        ; implicit-def: $vgpr1
                                        ; implicit-def: $vgpr0
; %bb.11:
	s_wait_alu 0xfffe
	s_or_saveexec_b32 s1, s0
	v_dual_mov_b32 v25, s3 :: v_dual_mov_b32 v24, s2
	s_add_nc_u64 s[2:3], s[14:15], s[10:11]
                                        ; implicit-def: $vgpr2_vgpr3
                                        ; implicit-def: $vgpr6_vgpr7
                                        ; implicit-def: $vgpr18_vgpr19
                                        ; implicit-def: $vgpr10_vgpr11
                                        ; implicit-def: $vgpr14_vgpr15
	s_wait_alu 0xfffe
	s_xor_b32 exec_lo, exec_lo, s1
	s_cbranch_execz .LBB0_13
; %bb.12:
	s_add_nc_u64 s[10:11], s[12:13], s[10:11]
	v_mov_b32_e32 v27, 0
	s_load_b64 s[10:11], s[10:11], 0x0
	s_wait_kmcnt 0x0
	v_mul_lo_u32 v6, s11, v22
	v_mul_lo_u32 v7, s10, v23
	v_mad_co_u64_u32 v[2:3], null, s10, v22, 0
	s_delay_alu instid0(VALU_DEP_1) | instskip(SKIP_1) | instid1(VALU_DEP_2)
	v_add3_u32 v3, v3, v7, v6
	v_mul_u32_u24_e32 v6, 0xe1, v1
	v_lshlrev_b64_e32 v[1:2], 4, v[2:3]
	v_lshlrev_b64_e32 v[3:4], 4, v[4:5]
	s_delay_alu instid0(VALU_DEP_3) | instskip(NEXT) | instid1(VALU_DEP_3)
	v_sub_nc_u32_e32 v26, v0, v6
	v_add_co_u32 v0, s0, s4, v1
	s_wait_alu 0xf1ff
	s_delay_alu instid0(VALU_DEP_4) | instskip(NEXT) | instid1(VALU_DEP_3)
	v_add_co_ci_u32_e64 v1, s0, s5, v2, s0
	v_lshlrev_b32_e32 v2, 4, v26
	s_delay_alu instid0(VALU_DEP_3) | instskip(SKIP_1) | instid1(VALU_DEP_3)
	v_add_co_u32 v0, s0, v0, v3
	s_wait_alu 0xf1ff
	v_add_co_ci_u32_e64 v1, s0, v1, v4, s0
	v_dual_mov_b32 v24, v26 :: v_dual_mov_b32 v25, v27
	s_delay_alu instid0(VALU_DEP_3) | instskip(SKIP_1) | instid1(VALU_DEP_3)
	v_add_co_u32 v0, s0, v0, v2
	s_wait_alu 0xf1ff
	v_add_co_ci_u32_e64 v1, s0, 0, v1, s0
	s_clause 0x4
	global_load_b128 v[12:15], v[0:1], off
	global_load_b128 v[8:11], v[0:1], off offset:3600
	global_load_b128 v[16:19], v[0:1], off offset:7200
	;; [unrolled: 1-line block ×4, first 2 shown]
.LBB0_13:
	s_or_b32 exec_lo, exec_lo, s1
	s_wait_loadcnt 0x1
	v_add_f64_e32 v[27:28], v[4:5], v[16:17]
	s_wait_loadcnt 0x0
	v_add_f64_e32 v[29:30], v[0:1], v[8:9]
	v_add_f64_e32 v[31:32], v[6:7], v[18:19]
	;; [unrolled: 1-line block ×4, first 2 shown]
	v_add_f64_e64 v[37:38], v[10:11], -v[2:3]
	v_add_f64_e64 v[39:40], v[18:19], -v[6:7]
	v_add_f64_e64 v[41:42], v[8:9], -v[0:1]
	v_add_f64_e64 v[43:44], v[16:17], -v[4:5]
	s_mov_b32 s4, 0x134454ff
	s_mov_b32 s5, 0x3fee6f0e
	;; [unrolled: 1-line block ×3, first 2 shown]
	s_wait_alu 0xfffe
	s_mov_b32 s10, s4
	v_add_f64_e64 v[45:46], v[0:1], -v[4:5]
	v_add_f64_e64 v[51:52], v[10:11], -v[18:19]
	;; [unrolled: 1-line block ×5, first 2 shown]
	s_mov_b32 s12, 0x4755a5e
	s_mov_b32 s13, 0x3fe2cf23
	;; [unrolled: 1-line block ×6, first 2 shown]
	s_load_b64 s[2:3], s[2:3], 0x0
	v_cmp_gt_u32_e64 s0, 0x96, v26
	v_fma_f64 v[27:28], v[27:28], -0.5, v[12:13]
	v_fma_f64 v[12:13], v[29:30], -0.5, v[12:13]
	v_add_f64_e32 v[29:30], v[10:11], v[14:15]
	v_fma_f64 v[31:32], v[31:32], -0.5, v[14:15]
	v_fma_f64 v[14:15], v[33:34], -0.5, v[14:15]
	v_add_f64_e64 v[33:34], v[8:9], -v[16:17]
	v_add_f64_e64 v[8:9], v[16:17], -v[8:9]
	v_add_f64_e32 v[16:17], v[16:17], v[35:36]
	v_add_f64_e64 v[10:11], v[18:19], -v[10:11]
	v_fma_f64 v[35:36], v[37:38], s[4:5], v[27:28]
	v_fma_f64 v[49:50], v[39:40], s[10:11], v[12:13]
	;; [unrolled: 1-line block ×3, first 2 shown]
	v_add_f64_e32 v[18:19], v[18:19], v[29:30]
	v_fma_f64 v[29:30], v[41:42], s[10:11], v[31:32]
	v_fma_f64 v[27:28], v[37:38], s[10:11], v[27:28]
	;; [unrolled: 1-line block ×5, first 2 shown]
	v_add_f64_e32 v[33:34], v[45:46], v[33:34]
	v_add_f64_e32 v[4:5], v[4:5], v[16:17]
	;; [unrolled: 1-line block ×4, first 2 shown]
	v_fma_f64 v[16:17], v[39:40], s[12:13], v[35:36]
	v_fma_f64 v[35:36], v[37:38], s[12:13], v[49:50]
	;; [unrolled: 1-line block ×3, first 2 shown]
	v_add_f64_e32 v[37:38], v[53:54], v[51:52]
	v_add_f64_e32 v[6:7], v[6:7], v[18:19]
	v_fma_f64 v[18:19], v[43:44], s[14:15], v[29:30]
	v_fma_f64 v[27:28], v[39:40], s[14:15], v[27:28]
	;; [unrolled: 1-line block ×5, first 2 shown]
	v_add_f64_e32 v[0:1], v[0:1], v[4:5]
	v_and_b32_e32 v40, 0xff, v26
	v_mad_u32_u24 v57, v26, 40, 0
	v_lshlrev_b32_e32 v58, 5, v26
	s_delay_alu instid0(VALU_DEP_1)
	v_sub_nc_u32_e32 v59, v57, v58
	v_fma_f64 v[4:5], v[33:34], s[16:17], v[16:17]
	v_fma_f64 v[16:17], v[8:9], s[16:17], v[35:36]
	v_fma_f64 v[8:9], v[8:9], s[16:17], v[12:13]
	v_add_f64_e32 v[2:3], v[2:3], v[6:7]
	v_fma_f64 v[18:19], v[37:38], s[16:17], v[18:19]
	v_fma_f64 v[12:13], v[33:34], s[16:17], v[27:28]
	;; [unrolled: 1-line block ×5, first 2 shown]
	v_mul_lo_u16 v33, 0xcd, v40
	v_add_nc_u32_e32 v31, 0xe00, v59
	ds_store_2addr_b64 v57, v[0:1], v[4:5] offset1:1
	ds_store_2addr_b64 v57, v[16:17], v[8:9] offset0:2 offset1:3
	ds_store_b64 v57, v[12:13] offset:32
	v_lshrrev_b16 v39, 10, v33
	global_wb scope:SCOPE_SE
	s_wait_dscnt 0x0
	s_wait_kmcnt 0x0
	s_barrier_signal -1
	s_barrier_wait -1
	global_inv scope:SCOPE_SE
	v_mul_lo_u16 v6, v39, 5
	s_delay_alu instid0(VALU_DEP_1) | instskip(NEXT) | instid1(VALU_DEP_1)
	v_sub_nc_u16 v6, v26, v6
	v_and_b32_e32 v60, 0xff, v6
	ds_load_2addr_b64 v[6:9], v59 offset1:225
	ds_load_2addr_b64 v[10:13], v31 offset0:2 offset1:227
	ds_load_b64 v[4:5], v59 offset:7200
	global_wb scope:SCOPE_SE
	s_wait_dscnt 0x0
	s_barrier_signal -1
	s_barrier_wait -1
	v_lshlrev_b32_e32 v32, 6, v60
	global_inv scope:SCOPE_SE
	ds_store_2addr_b64 v57, v[2:3], v[18:19] offset1:1
	ds_store_2addr_b64 v57, v[27:28], v[14:15] offset0:2 offset1:3
	ds_store_b64 v57, v[29:30] offset:32
	global_wb scope:SCOPE_SE
	s_wait_dscnt 0x0
	s_barrier_signal -1
	s_barrier_wait -1
	global_inv scope:SCOPE_SE
	s_clause 0x3
	global_load_b128 v[14:17], v32, s[8:9]
	global_load_b128 v[41:44], v32, s[8:9] offset:16
	global_load_b128 v[45:48], v32, s[8:9] offset:32
	;; [unrolled: 1-line block ×3, first 2 shown]
	ds_load_2addr_b64 v[0:3], v59 offset1:225
	ds_load_2addr_b64 v[53:56], v31 offset0:2 offset1:227
	ds_load_b64 v[37:38], v59 offset:7200
	global_wb scope:SCOPE_SE
	s_wait_loadcnt_dscnt 0x0
	s_barrier_signal -1
	s_barrier_wait -1
	global_inv scope:SCOPE_SE
	v_mul_f64_e32 v[18:19], v[2:3], v[16:17]
	v_mul_f64_e32 v[27:28], v[53:54], v[43:44]
	;; [unrolled: 1-line block ×8, first 2 shown]
	v_fma_f64 v[29:30], v[8:9], v[14:15], -v[18:19]
	v_fma_f64 v[31:32], v[10:11], v[41:42], -v[27:28]
	;; [unrolled: 1-line block ×4, first 2 shown]
	v_fma_f64 v[27:28], v[2:3], v[14:15], v[16:17]
	v_fma_f64 v[4:5], v[37:38], v[49:50], v[51:52]
	;; [unrolled: 1-line block ×4, first 2 shown]
	v_add_f64_e32 v[12:13], v[6:7], v[29:30]
	v_add_f64_e64 v[41:42], v[31:32], -v[29:30]
	v_add_f64_e32 v[2:3], v[31:32], v[33:34]
	v_add_f64_e32 v[10:11], v[29:30], v[35:36]
	v_add_f64_e64 v[37:38], v[35:36], -v[33:34]
	v_add_f64_e64 v[14:15], v[27:28], -v[4:5]
	;; [unrolled: 1-line block ×4, first 2 shown]
	v_add_f64_e32 v[12:13], v[12:13], v[31:32]
	v_fma_f64 v[2:3], v[2:3], -0.5, v[6:7]
	v_fma_f64 v[6:7], v[10:11], -0.5, v[6:7]
	v_add_f64_e64 v[10:11], v[29:30], -v[31:32]
	s_delay_alu instid0(VALU_DEP_4) | instskip(NEXT) | instid1(VALU_DEP_4)
	v_add_f64_e32 v[12:13], v[12:13], v[33:34]
	v_fma_f64 v[45:46], v[14:15], s[4:5], v[2:3]
	s_delay_alu instid0(VALU_DEP_4)
	v_fma_f64 v[47:48], v[16:17], s[10:11], v[6:7]
	v_fma_f64 v[6:7], v[16:17], s[4:5], v[6:7]
	;; [unrolled: 1-line block ×3, first 2 shown]
	v_add_f64_e32 v[10:11], v[10:11], v[37:38]
	v_add_f64_e32 v[37:38], v[41:42], v[43:44]
	;; [unrolled: 1-line block ×3, first 2 shown]
	v_fma_f64 v[41:42], v[16:17], s[12:13], v[45:46]
	v_fma_f64 v[43:44], v[14:15], s[12:13], v[47:48]
	;; [unrolled: 1-line block ×4, first 2 shown]
	s_delay_alu instid0(VALU_DEP_4) | instskip(NEXT) | instid1(VALU_DEP_4)
	v_fma_f64 v[16:17], v[10:11], s[16:17], v[41:42]
	v_fma_f64 v[41:42], v[37:38], s[16:17], v[43:44]
	s_delay_alu instid0(VALU_DEP_4) | instskip(NEXT) | instid1(VALU_DEP_4)
	v_fma_f64 v[2:3], v[37:38], s[16:17], v[6:7]
	v_fma_f64 v[10:11], v[10:11], s[16:17], v[14:15]
	v_and_b32_e32 v6, 0xffff, v39
	v_lshlrev_b32_e32 v7, 3, v60
	s_delay_alu instid0(VALU_DEP_2) | instskip(NEXT) | instid1(VALU_DEP_1)
	v_mul_u32_u24_e32 v6, 0xc8, v6
	v_add3_u32 v37, 0, v6, v7
	ds_store_2addr_b64 v37, v[12:13], v[16:17] offset1:5
	ds_store_2addr_b64 v37, v[41:42], v[2:3] offset0:10 offset1:15
	ds_store_b64 v37, v[10:11] offset:160
	global_wb scope:SCOPE_SE
	s_wait_dscnt 0x0
	s_barrier_signal -1
	s_barrier_wait -1
	global_inv scope:SCOPE_SE
	ds_load_b64 v[6:7], v59
	ds_load_b64 v[12:13], v59 offset:3000
	ds_load_b64 v[14:15], v59 offset:6000
	v_sub_nc_u32_e32 v16, 0, v58
	s_delay_alu instid0(VALU_DEP_1)
	v_add_nc_u32_e32 v39, v57, v16
                                        ; implicit-def: $vgpr16_vgpr17
	s_and_saveexec_b32 s1, s0
	s_cbranch_execz .LBB0_15
; %bb.14:
	ds_load_b64 v[2:3], v39 offset:1800
	ds_load_b64 v[10:11], v39 offset:4800
	;; [unrolled: 1-line block ×3, first 2 shown]
.LBB0_15:
	s_wait_alu 0xfffe
	s_or_b32 exec_lo, exec_lo, s1
	v_add_f64_e32 v[41:42], v[18:19], v[8:9]
	v_add_f64_e32 v[43:44], v[27:28], v[4:5]
	;; [unrolled: 1-line block ×3, first 2 shown]
	v_add_f64_e64 v[29:30], v[29:30], -v[35:36]
	v_add_f64_e64 v[31:32], v[31:32], -v[33:34]
	;; [unrolled: 1-line block ×4, first 2 shown]
	global_wb scope:SCOPE_SE
	s_wait_dscnt 0x0
	s_barrier_signal -1
	s_barrier_wait -1
	global_inv scope:SCOPE_SE
	v_fma_f64 v[33:34], v[41:42], -0.5, v[0:1]
	v_fma_f64 v[0:1], v[43:44], -0.5, v[0:1]
	v_add_f64_e64 v[41:42], v[4:5], -v[8:9]
	v_add_f64_e32 v[18:19], v[45:46], v[18:19]
	v_add_f64_e64 v[43:44], v[8:9], -v[4:5]
	v_fma_f64 v[45:46], v[29:30], s[10:11], v[33:34]
	v_fma_f64 v[47:48], v[31:32], s[4:5], v[0:1]
	;; [unrolled: 1-line block ×4, first 2 shown]
	v_add_f64_e32 v[35:36], v[35:36], v[41:42]
	v_add_f64_e32 v[8:9], v[18:19], v[8:9]
	;; [unrolled: 1-line block ×3, first 2 shown]
	v_fma_f64 v[18:19], v[31:32], s[14:15], v[45:46]
	v_fma_f64 v[41:42], v[29:30], s[14:15], v[47:48]
	;; [unrolled: 1-line block ×4, first 2 shown]
                                        ; implicit-def: $vgpr33_vgpr34
	v_add_f64_e32 v[8:9], v[8:9], v[4:5]
	v_fma_f64 v[18:19], v[35:36], s[16:17], v[18:19]
	v_fma_f64 v[31:32], v[27:28], s[16:17], v[41:42]
	;; [unrolled: 1-line block ×4, first 2 shown]
	ds_store_2addr_b64 v37, v[8:9], v[18:19] offset1:5
	ds_store_2addr_b64 v37, v[31:32], v[4:5] offset0:10 offset1:15
	ds_store_b64 v37, v[0:1] offset:160
	global_wb scope:SCOPE_SE
	s_wait_dscnt 0x0
	s_barrier_signal -1
	s_barrier_wait -1
	global_inv scope:SCOPE_SE
	ds_load_b64 v[8:9], v39
	ds_load_b64 v[35:36], v39 offset:3000
	ds_load_b64 v[37:38], v39 offset:6000
	s_and_saveexec_b32 s1, s0
	s_cbranch_execz .LBB0_17
; %bb.16:
	ds_load_b64 v[4:5], v39 offset:1800
	ds_load_b64 v[0:1], v39 offset:4800
	;; [unrolled: 1-line block ×3, first 2 shown]
.LBB0_17:
	s_wait_alu 0xfffe
	s_or_b32 exec_lo, exec_lo, s1
	v_add_nc_u32_e32 v41, 0xe1, v26
	v_mul_lo_u16 v27, v40, 41
	s_mov_b32 s4, 0xe8584caa
	s_mov_b32 s5, 0x3febb67a
	;; [unrolled: 1-line block ×3, first 2 shown]
	v_and_b32_e32 v42, 0xffff, v41
	v_lshrrev_b16 v63, 10, v27
	s_wait_alu 0xfffe
	s_mov_b32 s10, s4
	s_delay_alu instid0(VALU_DEP_2) | instskip(NEXT) | instid1(VALU_DEP_1)
	v_mul_u32_u24_e32 v18, 0x47af, v42
	v_lshrrev_b32_e32 v18, 16, v18
	s_delay_alu instid0(VALU_DEP_1) | instskip(NEXT) | instid1(VALU_DEP_1)
	v_sub_nc_u16 v19, v41, v18
	v_lshrrev_b16 v19, 1, v19
	s_delay_alu instid0(VALU_DEP_1) | instskip(NEXT) | instid1(VALU_DEP_1)
	v_add_nc_u16 v18, v19, v18
	v_lshrrev_b16 v64, 4, v18
	v_mul_lo_u16 v18, v63, 25
	s_delay_alu instid0(VALU_DEP_2) | instskip(NEXT) | instid1(VALU_DEP_2)
	v_mul_lo_u16 v19, v64, 25
	v_sub_nc_u16 v18, v26, v18
	s_delay_alu instid0(VALU_DEP_2) | instskip(NEXT) | instid1(VALU_DEP_2)
	v_sub_nc_u16 v19, v41, v19
	v_and_b32_e32 v65, 0xff, v18
	s_delay_alu instid0(VALU_DEP_2) | instskip(NEXT) | instid1(VALU_DEP_2)
	v_and_b32_e32 v66, 0xffff, v19
	v_lshlrev_b32_e32 v18, 5, v65
	s_delay_alu instid0(VALU_DEP_2)
	v_lshlrev_b32_e32 v19, 5, v66
	s_clause 0x3
	global_load_b128 v[43:46], v18, s[8:9] offset:320
	global_load_b128 v[47:50], v18, s[8:9] offset:336
	;; [unrolled: 1-line block ×4, first 2 shown]
	global_wb scope:SCOPE_SE
	s_wait_loadcnt_dscnt 0x0
	s_barrier_signal -1
	s_barrier_wait -1
	global_inv scope:SCOPE_SE
	v_mul_f64_e32 v[18:19], v[35:36], v[45:46]
	v_mul_f64_e32 v[27:28], v[37:38], v[49:50]
	;; [unrolled: 1-line block ×8, first 2 shown]
	v_fma_f64 v[29:30], v[12:13], v[43:44], -v[18:19]
	v_fma_f64 v[31:32], v[14:15], v[47:48], -v[27:28]
	;; [unrolled: 1-line block ×4, first 2 shown]
	v_fma_f64 v[35:36], v[35:36], v[43:44], v[45:46]
	v_fma_f64 v[16:17], v[37:38], v[47:48], v[49:50]
	;; [unrolled: 1-line block ×4, first 2 shown]
	v_add_f64_e32 v[12:13], v[6:7], v[29:30]
	v_add_f64_e32 v[0:1], v[29:30], v[31:32]
	;; [unrolled: 1-line block ×4, first 2 shown]
	v_add_f64_e64 v[14:15], v[35:36], -v[16:17]
	v_add_f64_e64 v[45:46], v[37:38], -v[33:34]
	v_fma_f64 v[6:7], v[0:1], -0.5, v[6:7]
	v_add_f64_e32 v[0:1], v[43:44], v[27:28]
	v_fma_f64 v[2:3], v[10:11], -0.5, v[2:3]
	v_add_f64_e32 v[10:11], v[12:13], v[31:32]
	v_and_b32_e32 v43, 0xffff, v63
	v_lshlrev_b32_e32 v44, 3, v65
	s_delay_alu instid0(VALU_DEP_2)
	v_mul_u32_u24_e32 v43, 0x258, v43
	v_fma_f64 v[12:13], v[14:15], s[4:5], v[6:7]
	s_wait_alu 0xfffe
	v_fma_f64 v[14:15], v[14:15], s[10:11], v[6:7]
	v_fma_f64 v[6:7], v[45:46], s[4:5], v[2:3]
	v_fma_f64 v[2:3], v[45:46], s[10:11], v[2:3]
	v_add3_u32 v45, 0, v43, v44
	v_mul_lo_u16 v44, 0x4b, v64
	v_lshlrev_b32_e32 v43, 3, v66
	ds_store_2addr_b64 v45, v[10:11], v[12:13] offset1:25
	ds_store_b64 v45, v[14:15] offset:400
	s_and_saveexec_b32 s1, s0
	s_cbranch_execz .LBB0_19
; %bb.18:
	v_and_b32_e32 v10, 0xffff, v44
	s_delay_alu instid0(VALU_DEP_1) | instskip(NEXT) | instid1(VALU_DEP_1)
	v_lshlrev_b32_e32 v10, 3, v10
	v_add3_u32 v10, 0, v43, v10
	ds_store_2addr_b64 v10, v[0:1], v[6:7] offset1:25
	ds_store_b64 v10, v[2:3] offset:400
.LBB0_19:
	s_wait_alu 0xfffe
	s_or_b32 exec_lo, exec_lo, s1
	global_wb scope:SCOPE_SE
	s_wait_dscnt 0x0
	s_barrier_signal -1
	s_barrier_wait -1
	global_inv scope:SCOPE_SE
	ds_load_b64 v[10:11], v39
	ds_load_b64 v[12:13], v39 offset:3000
	ds_load_b64 v[14:15], v39 offset:6000
	s_and_saveexec_b32 s1, s0
	s_cbranch_execz .LBB0_21
; %bb.20:
	ds_load_b64 v[0:1], v39 offset:1800
	ds_load_b64 v[6:7], v39 offset:4800
	ds_load_b64 v[2:3], v39 offset:7800
.LBB0_21:
	s_wait_alu 0xfffe
	s_or_b32 exec_lo, exec_lo, s1
	v_add_f64_e32 v[46:47], v[35:36], v[16:17]
	v_add_f64_e32 v[48:49], v[37:38], v[33:34]
	;; [unrolled: 1-line block ×3, first 2 shown]
	v_add_f64_e64 v[29:30], v[29:30], -v[31:32]
	v_add_f64_e32 v[31:32], v[4:5], v[37:38]
	v_add_f64_e64 v[27:28], v[18:19], -v[27:28]
	s_mov_b32 s4, 0xe8584caa
	s_mov_b32 s5, 0xbfebb67a
	;; [unrolled: 1-line block ×3, first 2 shown]
	s_wait_alu 0xfffe
	s_mov_b32 s10, s4
	global_wb scope:SCOPE_SE
	s_wait_dscnt 0x0
	s_barrier_signal -1
	s_barrier_wait -1
	global_inv scope:SCOPE_SE
	v_fma_f64 v[37:38], v[46:47], -0.5, v[8:9]
	v_fma_f64 v[4:5], v[48:49], -0.5, v[4:5]
	v_add_f64_e32 v[35:36], v[35:36], v[16:17]
	v_add_f64_e32 v[8:9], v[31:32], v[33:34]
	s_delay_alu instid0(VALU_DEP_4) | instskip(NEXT) | instid1(VALU_DEP_4)
	v_fma_f64 v[31:32], v[29:30], s[4:5], v[37:38]
	v_fma_f64 v[18:19], v[27:28], s[4:5], v[4:5]
	s_wait_alu 0xfffe
	v_fma_f64 v[16:17], v[27:28], s[10:11], v[4:5]
	v_fma_f64 v[29:30], v[29:30], s[10:11], v[37:38]
	ds_store_2addr_b64 v45, v[35:36], v[31:32] offset1:25
	ds_store_b64 v45, v[29:30] offset:400
	s_and_saveexec_b32 s1, s0
	s_cbranch_execz .LBB0_23
; %bb.22:
	v_and_b32_e32 v4, 0xffff, v44
	s_delay_alu instid0(VALU_DEP_1) | instskip(NEXT) | instid1(VALU_DEP_1)
	v_lshlrev_b32_e32 v4, 3, v4
	v_add3_u32 v4, 0, v43, v4
	ds_store_2addr_b64 v4, v[8:9], v[18:19] offset1:25
	ds_store_b64 v4, v[16:17] offset:400
.LBB0_23:
	s_wait_alu 0xfffe
	s_or_b32 exec_lo, exec_lo, s1
	global_wb scope:SCOPE_SE
	s_wait_dscnt 0x0
	s_barrier_signal -1
	s_barrier_wait -1
	global_inv scope:SCOPE_SE
	ds_load_b64 v[4:5], v39
	ds_load_b64 v[27:28], v39 offset:3000
	ds_load_b64 v[31:32], v39 offset:6000
	s_and_saveexec_b32 s1, s0
	s_cbranch_execz .LBB0_25
; %bb.24:
	ds_load_b64 v[8:9], v39 offset:1800
	ds_load_b64 v[18:19], v39 offset:4800
	ds_load_b64 v[16:17], v39 offset:7800
.LBB0_25:
	s_wait_alu 0xfffe
	s_or_b32 exec_lo, exec_lo, s1
	v_mul_lo_u16 v29, 0xdb, v40
	s_mov_b32 s4, 0xe8584caa
	s_mov_b32 s5, 0x3febb67a
	;; [unrolled: 1-line block ×3, first 2 shown]
	s_wait_alu 0xfffe
	s_mov_b32 s10, s4
	v_lshrrev_b16 v55, 14, v29
	s_delay_alu instid0(VALU_DEP_1) | instskip(NEXT) | instid1(VALU_DEP_1)
	v_mul_lo_u16 v29, 0x4b, v55
	v_sub_nc_u16 v29, v26, v29
	s_delay_alu instid0(VALU_DEP_1) | instskip(NEXT) | instid1(VALU_DEP_1)
	v_and_b32_e32 v56, 0xff, v29
	v_lshlrev_b32_e32 v29, 5, v56
	s_clause 0x1
	global_load_b128 v[33:36], v29, s[8:9] offset:1120
	global_load_b128 v[43:46], v29, s[8:9] offset:1136
	v_mul_u32_u24_e32 v29, 0xb4e9, v42
	s_delay_alu instid0(VALU_DEP_1) | instskip(NEXT) | instid1(VALU_DEP_1)
	v_lshrrev_b32_e32 v29, 16, v29
	v_sub_nc_u16 v30, v41, v29
	s_delay_alu instid0(VALU_DEP_1) | instskip(NEXT) | instid1(VALU_DEP_1)
	v_lshrrev_b16 v30, 1, v30
	v_add_nc_u16 v29, v30, v29
	s_delay_alu instid0(VALU_DEP_1) | instskip(NEXT) | instid1(VALU_DEP_1)
	v_lshrrev_b16 v57, 6, v29
	v_mul_lo_u16 v29, 0x4b, v57
	s_delay_alu instid0(VALU_DEP_1) | instskip(NEXT) | instid1(VALU_DEP_1)
	v_sub_nc_u16 v29, v41, v29
	v_and_b32_e32 v58, 0xffff, v29
	s_delay_alu instid0(VALU_DEP_1)
	v_lshlrev_b32_e32 v29, 5, v58
	s_clause 0x1
	global_load_b128 v[47:50], v29, s[8:9] offset:1120
	global_load_b128 v[51:54], v29, s[8:9] offset:1136
	global_wb scope:SCOPE_SE
	s_wait_loadcnt_dscnt 0x0
	s_barrier_signal -1
	s_barrier_wait -1
	global_inv scope:SCOPE_SE
	v_mul_f64_e32 v[29:30], v[27:28], v[35:36]
	v_mul_f64_e32 v[37:38], v[31:32], v[45:46]
	;; [unrolled: 1-line block ×4, first 2 shown]
	s_delay_alu instid0(VALU_DEP_4) | instskip(NEXT) | instid1(VALU_DEP_4)
	v_fma_f64 v[12:13], v[12:13], v[33:34], -v[29:30]
	v_fma_f64 v[14:15], v[14:15], v[43:44], -v[37:38]
	s_delay_alu instid0(VALU_DEP_4) | instskip(NEXT) | instid1(VALU_DEP_4)
	v_fma_f64 v[29:30], v[27:28], v[33:34], v[35:36]
	v_fma_f64 v[27:28], v[31:32], v[43:44], v[40:41]
	v_mul_f64_e32 v[33:34], v[18:19], v[49:50]
	v_mul_f64_e32 v[35:36], v[6:7], v[49:50]
	;; [unrolled: 1-line block ×4, first 2 shown]
	v_add_f64_e32 v[40:41], v[10:11], v[12:13]
	v_add_f64_e32 v[31:32], v[12:13], v[14:15]
	v_add_f64_e64 v[42:43], v[29:30], -v[27:28]
	v_fma_f64 v[18:19], v[18:19], v[47:48], v[35:36]
	v_and_b32_e32 v35, 0xffff, v55
	v_fma_f64 v[16:17], v[16:17], v[51:52], v[44:45]
	v_lshlrev_b32_e32 v36, 3, v56
	s_delay_alu instid0(VALU_DEP_3)
	v_mul_u32_u24_e32 v35, 0x708, v35
	v_fma_f64 v[10:11], v[31:32], -0.5, v[10:11]
	v_fma_f64 v[31:32], v[6:7], v[47:48], -v[33:34]
	v_fma_f64 v[33:34], v[2:3], v[51:52], -v[37:38]
	v_add_f64_e32 v[2:3], v[40:41], v[14:15]
	v_add3_u32 v37, 0, v35, v36
	v_mul_lo_u16 v36, 0xe1, v57
	v_lshlrev_b32_e32 v35, 3, v58
	v_fma_f64 v[6:7], v[42:43], s[4:5], v[10:11]
	s_wait_alu 0xfffe
	v_fma_f64 v[10:11], v[42:43], s[10:11], v[10:11]
	ds_store_2addr_b64 v37, v[2:3], v[6:7] offset1:75
	ds_store_b64 v37, v[10:11] offset:1200
	s_and_saveexec_b32 s1, s0
	s_cbranch_execz .LBB0_27
; %bb.26:
	v_add_f64_e32 v[2:3], v[31:32], v[33:34]
	v_add_f64_e64 v[6:7], v[18:19], -v[16:17]
	v_add_f64_e32 v[10:11], v[0:1], v[31:32]
	s_delay_alu instid0(VALU_DEP_3) | instskip(NEXT) | instid1(VALU_DEP_2)
	v_fma_f64 v[0:1], v[2:3], -0.5, v[0:1]
	v_add_f64_e32 v[2:3], v[10:11], v[33:34]
	s_delay_alu instid0(VALU_DEP_2) | instskip(SKIP_2) | instid1(VALU_DEP_1)
	v_fma_f64 v[10:11], v[6:7], s[4:5], v[0:1]
	v_fma_f64 v[0:1], v[6:7], s[10:11], v[0:1]
	v_and_b32_e32 v6, 0xffff, v36
	v_lshlrev_b32_e32 v6, 3, v6
	s_delay_alu instid0(VALU_DEP_1)
	v_add3_u32 v6, 0, v35, v6
	ds_store_2addr_b64 v6, v[2:3], v[10:11] offset1:75
	ds_store_b64 v6, v[0:1] offset:1200
.LBB0_27:
	s_wait_alu 0xfffe
	s_or_b32 exec_lo, exec_lo, s1
	v_add_f64_e32 v[0:1], v[29:30], v[27:28]
	v_add_f64_e32 v[2:3], v[4:5], v[29:30]
	v_add_f64_e64 v[6:7], v[12:13], -v[14:15]
	global_wb scope:SCOPE_SE
	s_wait_dscnt 0x0
	s_barrier_signal -1
	s_barrier_wait -1
	global_inv scope:SCOPE_SE
	v_fma_f64 v[0:1], v[0:1], -0.5, v[4:5]
	v_add_f64_e32 v[12:13], v[2:3], v[27:28]
	v_add_nc_u32_e32 v4, 0xe00, v39
	s_delay_alu instid0(VALU_DEP_3)
	v_fma_f64 v[14:15], v[6:7], s[10:11], v[0:1]
	v_fma_f64 v[27:28], v[6:7], s[4:5], v[0:1]
	ds_load_2addr_b64 v[0:3], v39 offset1:225
	ds_load_b64 v[10:11], v39 offset:7200
	ds_load_2addr_b64 v[4:7], v4 offset0:2 offset1:227
	global_wb scope:SCOPE_SE
	s_wait_dscnt 0x0
	s_barrier_signal -1
	s_barrier_wait -1
	global_inv scope:SCOPE_SE
	ds_store_2addr_b64 v37, v[12:13], v[14:15] offset1:75
	ds_store_b64 v37, v[27:28] offset:1200
	s_and_saveexec_b32 s1, s0
	s_cbranch_execz .LBB0_29
; %bb.28:
	v_add_f64_e32 v[12:13], v[18:19], v[16:17]
	v_add_f64_e64 v[14:15], v[31:32], -v[33:34]
	s_mov_b32 s5, 0xbfebb67a
	s_mov_b32 s4, 0xe8584caa
	s_delay_alu instid0(VALU_DEP_2) | instskip(SKIP_2) | instid1(VALU_DEP_2)
	v_fma_f64 v[12:13], v[12:13], -0.5, v[8:9]
	v_add_f64_e32 v[8:9], v[8:9], v[18:19]
	s_wait_alu 0xfffe
	v_fma_f64 v[18:19], v[14:15], s[4:5], v[12:13]
	s_mov_b32 s5, 0x3febb67a
	s_delay_alu instid0(VALU_DEP_2) | instskip(SKIP_3) | instid1(VALU_DEP_1)
	v_add_f64_e32 v[8:9], v[8:9], v[16:17]
	s_wait_alu 0xfffe
	v_fma_f64 v[12:13], v[14:15], s[4:5], v[12:13]
	v_and_b32_e32 v14, 0xffff, v36
	v_lshlrev_b32_e32 v14, 3, v14
	s_delay_alu instid0(VALU_DEP_1)
	v_add3_u32 v14, 0, v35, v14
	ds_store_2addr_b64 v14, v[8:9], v[18:19] offset1:75
	ds_store_b64 v14, v[12:13] offset:1200
.LBB0_29:
	s_wait_alu 0xfffe
	s_or_b32 exec_lo, exec_lo, s1
	global_wb scope:SCOPE_SE
	s_wait_dscnt 0x0
	s_barrier_signal -1
	s_barrier_wait -1
	global_inv scope:SCOPE_SE
	s_and_saveexec_b32 s0, vcc_lo
	s_cbranch_execz .LBB0_31
; %bb.30:
	v_dual_mov_b32 v9, 0 :: v_dual_lshlrev_b32 v8, 2, v26
	s_mov_b32 s0, 0x134454ff
	s_mov_b32 s1, 0xbfee6f0e
	;; [unrolled: 1-line block ×3, first 2 shown]
	s_wait_alu 0xfffe
	s_mov_b32 s4, s0
	v_lshlrev_b64_e32 v[8:9], 4, v[8:9]
	v_lshlrev_b64_e32 v[20:21], 4, v[20:21]
	s_delay_alu instid0(VALU_DEP_2) | instskip(SKIP_1) | instid1(VALU_DEP_3)
	v_add_co_u32 v8, vcc_lo, s8, v8
	s_wait_alu 0xfffd
	v_add_co_ci_u32_e32 v9, vcc_lo, s9, v9, vcc_lo
	s_clause 0x3
	global_load_b128 v[12:15], v[8:9], off offset:3536
	global_load_b128 v[16:19], v[8:9], off offset:3520
	;; [unrolled: 1-line block ×4, first 2 shown]
	v_add_nc_u32_e32 v8, 0xe00, v39
	ds_load_2addr_b64 v[34:37], v39 offset1:225
	ds_load_2addr_b64 v[40:43], v8 offset0:2 offset1:227
	ds_load_b64 v[8:9], v39 offset:7200
	s_wait_loadcnt 0x3
	v_mul_f64_e32 v[38:39], v[4:5], v[14:15]
	s_wait_loadcnt 0x2
	v_mul_f64_e32 v[44:45], v[2:3], v[18:19]
	;; [unrolled: 2-line block ×4, first 2 shown]
	s_wait_dscnt 0x1
	v_mul_f64_e32 v[14:15], v[40:41], v[14:15]
	v_mul_f64_e32 v[32:33], v[42:43], v[32:33]
	;; [unrolled: 1-line block ×3, first 2 shown]
	s_wait_dscnt 0x0
	v_mul_f64_e32 v[28:29], v[8:9], v[28:29]
	v_fma_f64 v[38:39], v[40:41], v[12:13], v[38:39]
	v_fma_f64 v[36:37], v[36:37], v[16:17], v[44:45]
	;; [unrolled: 1-line block ×4, first 2 shown]
	v_fma_f64 v[4:5], v[4:5], v[12:13], -v[14:15]
	v_fma_f64 v[6:7], v[6:7], v[30:31], -v[32:33]
	v_fma_f64 v[2:3], v[2:3], v[16:17], -v[18:19]
	v_fma_f64 v[10:11], v[10:11], v[26:27], -v[28:29]
	v_add_f64_e32 v[30:31], v[36:37], v[34:35]
	v_add_f64_e32 v[12:13], v[36:37], v[8:9]
	;; [unrolled: 1-line block ×3, first 2 shown]
	v_add_f64_e64 v[42:43], v[38:39], -v[40:41]
	v_add_f64_e32 v[16:17], v[4:5], v[6:7]
	v_add_f64_e32 v[32:33], v[0:1], v[2:3]
	;; [unrolled: 1-line block ×3, first 2 shown]
	v_add_f64_e64 v[26:27], v[2:3], -v[10:11]
	v_add_f64_e64 v[28:29], v[4:5], -v[6:7]
	;; [unrolled: 1-line block ×8, first 2 shown]
	v_add_f64_e32 v[30:31], v[38:39], v[30:31]
	v_fma_f64 v[12:13], v[12:13], -0.5, v[34:35]
	v_fma_f64 v[14:15], v[14:15], -0.5, v[34:35]
	v_add_f64_e64 v[34:35], v[36:37], -v[8:9]
	v_fma_f64 v[16:17], v[16:17], -0.5, v[0:1]
	v_add_f64_e32 v[4:5], v[4:5], v[32:33]
	v_fma_f64 v[0:1], v[18:19], -0.5, v[0:1]
	v_add_f64_e64 v[18:19], v[38:39], -v[36:37]
	v_add_f64_e64 v[36:37], v[36:37], -v[38:39]
	v_fma_f64 v[32:33], v[28:29], s[0:1], v[12:13]
	s_wait_alu 0xfffe
	v_fma_f64 v[12:13], v[28:29], s[4:5], v[12:13]
	v_fma_f64 v[38:39], v[26:27], s[4:5], v[14:15]
	;; [unrolled: 1-line block ×7, first 2 shown]
	s_mov_b32 s0, 0x4755a5e
	s_mov_b32 s1, 0x3fe2cf23
	;; [unrolled: 1-line block ×3, first 2 shown]
	s_wait_alu 0xfffe
	s_mov_b32 s4, s0
	v_add_f64_e32 v[36:37], v[36:37], v[46:47]
	v_add_f64_e32 v[46:47], v[2:3], v[52:53]
	;; [unrolled: 1-line block ×6, first 2 shown]
	v_mul_lo_u32 v40, s3, v22
	v_mul_lo_u32 v41, s2, v23
	v_mad_co_u64_u32 v[22:23], null, s2, v22, 0
	s_delay_alu instid0(VALU_DEP_1) | instskip(NEXT) | instid1(VALU_DEP_1)
	v_add3_u32 v23, v23, v41, v40
	v_lshlrev_b64_e32 v[22:23], 4, v[22:23]
	v_fma_f64 v[6:7], v[26:27], s[0:1], v[32:33]
	s_wait_alu 0xfffe
	v_fma_f64 v[12:13], v[26:27], s[4:5], v[12:13]
	v_fma_f64 v[26:27], v[28:29], s[0:1], v[38:39]
	;; [unrolled: 1-line block ×7, first 2 shown]
	s_mov_b32 s0, 0x372fe950
	s_mov_b32 s1, 0x3fd3c6ef
	v_add_f64_e32 v[2:3], v[8:9], v[2:3]
	v_add_f64_e32 v[0:1], v[4:5], v[10:11]
	s_wait_alu 0xfffe
	v_fma_f64 v[6:7], v[18:19], s[0:1], v[6:7]
	v_fma_f64 v[10:11], v[18:19], s[0:1], v[12:13]
	;; [unrolled: 1-line block ×8, first 2 shown]
	v_add_co_u32 v26, vcc_lo, s6, v22
	s_wait_alu 0xfffd
	v_add_co_ci_u32_e32 v27, vcc_lo, s7, v23, vcc_lo
	v_lshlrev_b64_e32 v[22:23], 4, v[24:25]
	s_delay_alu instid0(VALU_DEP_3) | instskip(SKIP_1) | instid1(VALU_DEP_3)
	v_add_co_u32 v20, vcc_lo, v26, v20
	s_wait_alu 0xfffd
	v_add_co_ci_u32_e32 v21, vcc_lo, v27, v21, vcc_lo
	s_delay_alu instid0(VALU_DEP_2) | instskip(SKIP_1) | instid1(VALU_DEP_2)
	v_add_co_u32 v20, vcc_lo, v20, v22
	s_wait_alu 0xfffd
	v_add_co_ci_u32_e32 v21, vcc_lo, v21, v23, vcc_lo
	s_clause 0x4
	global_store_b128 v[20:21], v[0:3], off
	global_store_b128 v[20:21], v[16:19], off offset:3600
	global_store_b128 v[20:21], v[8:11], off offset:7200
	;; [unrolled: 1-line block ×4, first 2 shown]
.LBB0_31:
	s_nop 0
	s_sendmsg sendmsg(MSG_DEALLOC_VGPRS)
	s_endpgm
	.section	.rodata,"a",@progbits
	.p2align	6, 0x0
	.amdhsa_kernel fft_rtc_fwd_len1125_factors_5_5_3_3_5_wgs_225_tpt_225_halfLds_dp_op_CI_CI_unitstride_sbrr_dirReg
		.amdhsa_group_segment_fixed_size 0
		.amdhsa_private_segment_fixed_size 0
		.amdhsa_kernarg_size 104
		.amdhsa_user_sgpr_count 2
		.amdhsa_user_sgpr_dispatch_ptr 0
		.amdhsa_user_sgpr_queue_ptr 0
		.amdhsa_user_sgpr_kernarg_segment_ptr 1
		.amdhsa_user_sgpr_dispatch_id 0
		.amdhsa_user_sgpr_private_segment_size 0
		.amdhsa_wavefront_size32 1
		.amdhsa_uses_dynamic_stack 0
		.amdhsa_enable_private_segment 0
		.amdhsa_system_sgpr_workgroup_id_x 1
		.amdhsa_system_sgpr_workgroup_id_y 0
		.amdhsa_system_sgpr_workgroup_id_z 0
		.amdhsa_system_sgpr_workgroup_info 0
		.amdhsa_system_vgpr_workitem_id 0
		.amdhsa_next_free_vgpr 67
		.amdhsa_next_free_sgpr 39
		.amdhsa_reserve_vcc 1
		.amdhsa_float_round_mode_32 0
		.amdhsa_float_round_mode_16_64 0
		.amdhsa_float_denorm_mode_32 3
		.amdhsa_float_denorm_mode_16_64 3
		.amdhsa_fp16_overflow 0
		.amdhsa_workgroup_processor_mode 1
		.amdhsa_memory_ordered 1
		.amdhsa_forward_progress 0
		.amdhsa_round_robin_scheduling 0
		.amdhsa_exception_fp_ieee_invalid_op 0
		.amdhsa_exception_fp_denorm_src 0
		.amdhsa_exception_fp_ieee_div_zero 0
		.amdhsa_exception_fp_ieee_overflow 0
		.amdhsa_exception_fp_ieee_underflow 0
		.amdhsa_exception_fp_ieee_inexact 0
		.amdhsa_exception_int_div_zero 0
	.end_amdhsa_kernel
	.text
.Lfunc_end0:
	.size	fft_rtc_fwd_len1125_factors_5_5_3_3_5_wgs_225_tpt_225_halfLds_dp_op_CI_CI_unitstride_sbrr_dirReg, .Lfunc_end0-fft_rtc_fwd_len1125_factors_5_5_3_3_5_wgs_225_tpt_225_halfLds_dp_op_CI_CI_unitstride_sbrr_dirReg
                                        ; -- End function
	.section	.AMDGPU.csdata,"",@progbits
; Kernel info:
; codeLenInByte = 6140
; NumSgprs: 41
; NumVgprs: 67
; ScratchSize: 0
; MemoryBound: 1
; FloatMode: 240
; IeeeMode: 1
; LDSByteSize: 0 bytes/workgroup (compile time only)
; SGPRBlocks: 5
; VGPRBlocks: 8
; NumSGPRsForWavesPerEU: 41
; NumVGPRsForWavesPerEU: 67
; Occupancy: 16
; WaveLimiterHint : 1
; COMPUTE_PGM_RSRC2:SCRATCH_EN: 0
; COMPUTE_PGM_RSRC2:USER_SGPR: 2
; COMPUTE_PGM_RSRC2:TRAP_HANDLER: 0
; COMPUTE_PGM_RSRC2:TGID_X_EN: 1
; COMPUTE_PGM_RSRC2:TGID_Y_EN: 0
; COMPUTE_PGM_RSRC2:TGID_Z_EN: 0
; COMPUTE_PGM_RSRC2:TIDIG_COMP_CNT: 0
	.text
	.p2alignl 7, 3214868480
	.fill 96, 4, 3214868480
	.type	__hip_cuid_3e378dbcf9312ebd,@object ; @__hip_cuid_3e378dbcf9312ebd
	.section	.bss,"aw",@nobits
	.globl	__hip_cuid_3e378dbcf9312ebd
__hip_cuid_3e378dbcf9312ebd:
	.byte	0                               ; 0x0
	.size	__hip_cuid_3e378dbcf9312ebd, 1

	.ident	"AMD clang version 19.0.0git (https://github.com/RadeonOpenCompute/llvm-project roc-6.4.0 25133 c7fe45cf4b819c5991fe208aaa96edf142730f1d)"
	.section	".note.GNU-stack","",@progbits
	.addrsig
	.addrsig_sym __hip_cuid_3e378dbcf9312ebd
	.amdgpu_metadata
---
amdhsa.kernels:
  - .args:
      - .actual_access:  read_only
        .address_space:  global
        .offset:         0
        .size:           8
        .value_kind:     global_buffer
      - .offset:         8
        .size:           8
        .value_kind:     by_value
      - .actual_access:  read_only
        .address_space:  global
        .offset:         16
        .size:           8
        .value_kind:     global_buffer
      - .actual_access:  read_only
        .address_space:  global
        .offset:         24
        .size:           8
        .value_kind:     global_buffer
      - .actual_access:  read_only
        .address_space:  global
        .offset:         32
        .size:           8
        .value_kind:     global_buffer
      - .offset:         40
        .size:           8
        .value_kind:     by_value
      - .actual_access:  read_only
        .address_space:  global
        .offset:         48
        .size:           8
        .value_kind:     global_buffer
      - .actual_access:  read_only
        .address_space:  global
        .offset:         56
        .size:           8
        .value_kind:     global_buffer
      - .offset:         64
        .size:           4
        .value_kind:     by_value
      - .actual_access:  read_only
        .address_space:  global
        .offset:         72
        .size:           8
        .value_kind:     global_buffer
      - .actual_access:  read_only
        .address_space:  global
        .offset:         80
        .size:           8
        .value_kind:     global_buffer
      - .actual_access:  read_only
        .address_space:  global
        .offset:         88
        .size:           8
        .value_kind:     global_buffer
      - .actual_access:  write_only
        .address_space:  global
        .offset:         96
        .size:           8
        .value_kind:     global_buffer
    .group_segment_fixed_size: 0
    .kernarg_segment_align: 8
    .kernarg_segment_size: 104
    .language:       OpenCL C
    .language_version:
      - 2
      - 0
    .max_flat_workgroup_size: 225
    .name:           fft_rtc_fwd_len1125_factors_5_5_3_3_5_wgs_225_tpt_225_halfLds_dp_op_CI_CI_unitstride_sbrr_dirReg
    .private_segment_fixed_size: 0
    .sgpr_count:     41
    .sgpr_spill_count: 0
    .symbol:         fft_rtc_fwd_len1125_factors_5_5_3_3_5_wgs_225_tpt_225_halfLds_dp_op_CI_CI_unitstride_sbrr_dirReg.kd
    .uniform_work_group_size: 1
    .uses_dynamic_stack: false
    .vgpr_count:     67
    .vgpr_spill_count: 0
    .wavefront_size: 32
    .workgroup_processor_mode: 1
amdhsa.target:   amdgcn-amd-amdhsa--gfx1201
amdhsa.version:
  - 1
  - 2
...

	.end_amdgpu_metadata
